;; amdgpu-corpus repo=ROCm/rocFFT kind=compiled arch=gfx1030 opt=O3
	.text
	.amdgcn_target "amdgcn-amd-amdhsa--gfx1030"
	.amdhsa_code_object_version 6
	.protected	bluestein_single_back_len245_dim1_dp_op_CI_CI ; -- Begin function bluestein_single_back_len245_dim1_dp_op_CI_CI
	.globl	bluestein_single_back_len245_dim1_dp_op_CI_CI
	.p2align	8
	.type	bluestein_single_back_len245_dim1_dp_op_CI_CI,@function
bluestein_single_back_len245_dim1_dp_op_CI_CI: ; @bluestein_single_back_len245_dim1_dp_op_CI_CI
; %bb.0:
	s_load_dwordx4 s[12:15], s[4:5], 0x28
	v_mul_u32_u24_e32 v1, 0x751, v0
	s_mov_b32 s0, exec_lo
	v_lshrrev_b32_e32 v1, 16, v1
	v_mad_u64_u32 v[124:125], null, s6, 7, v[1:2]
	v_mov_b32_e32 v125, 0
	s_waitcnt lgkmcnt(0)
	v_cmpx_gt_u64_e64 s[12:13], v[124:125]
	s_cbranch_execz .LBB0_10
; %bb.1:
	s_clause 0x1
	s_load_dwordx4 s[8:11], s[4:5], 0x18
	s_load_dwordx4 s[0:3], s[4:5], 0x0
	v_mul_lo_u16 v1, v1, 35
	v_mul_hi_u32 v57, 0x24924925, v124
	s_mov_b32 s12, 0xe976ee23
	s_mov_b32 s13, 0xbfe11646
	s_load_dwordx2 s[4:5], s[4:5], 0x38
	v_sub_nc_u16 v28, v0, v1
                                        ; implicit-def: $vgpr96_vgpr97
	v_sub_nc_u32_e32 v58, v124, v57
	v_and_b32_e32 v125, 0xffff, v28
	v_lshrrev_b32_e32 v58, 1, v58
	v_lshlrev_b32_e32 v85, 4, v125
	s_waitcnt lgkmcnt(0)
	s_load_dwordx4 s[16:19], s[8:9], 0x0
	v_add_nc_u32_e32 v57, v58, v57
	v_add_co_u32 v110, s6, s0, v85
	v_add_co_ci_u32_e64 v111, null, s1, 0, s6
	v_lshrrev_b32_e32 v57, 2, v57
	v_mul_lo_u32 v86, v57, 7
	v_sub_nc_u32_e32 v86, v124, v86
	s_waitcnt lgkmcnt(0)
	v_mad_u64_u32 v[8:9], null, s16, v125, 0
	v_mad_u64_u32 v[0:1], null, s18, v124, 0
	s_mul_i32 s6, s17, 0x230
	s_mul_hi_u32 s7, s16, 0x230
	s_mul_i32 s8, s16, 0x230
	s_add_i32 s7, s7, s6
	v_mov_b32_e32 v2, v9
	s_mov_b32 s16, 0xb247c609
	v_mad_u64_u32 v[3:4], null, s19, v124, v[1:2]
	v_mad_u64_u32 v[4:5], null, s17, v125, v[2:3]
	v_mov_b32_e32 v1, v3
	s_mov_b32 s17, 0x3fd5d0dc
	v_lshlrev_b64 v[10:11], 4, v[0:1]
	v_mov_b32_e32 v9, v4
	s_clause 0x1
	global_load_dwordx4 v[0:3], v85, s[0:1]
	global_load_dwordx4 v[4:7], v85, s[0:1] offset:560
	v_add_co_u32 v10, vcc_lo, s14, v10
	v_lshlrev_b64 v[8:9], 4, v[8:9]
	v_add_co_ci_u32_e32 v11, vcc_lo, s15, v11, vcc_lo
	s_mov_b32 s15, 0x3fe77f67
	s_mov_b32 s14, 0x5476071b
	v_add_co_u32 v16, vcc_lo, v10, v8
	v_add_co_ci_u32_e32 v17, vcc_lo, v11, v9, vcc_lo
	s_clause 0x1
	global_load_dwordx4 v[8:11], v85, s[0:1] offset:1120
	global_load_dwordx4 v[12:15], v85, s[0:1] offset:1680
	v_add_co_u32 v18, vcc_lo, v16, s8
	v_add_co_ci_u32_e32 v19, vcc_lo, s7, v17, vcc_lo
	global_load_dwordx4 v[29:32], v[16:17], off
	v_add_co_u32 v20, vcc_lo, v18, s8
	v_add_co_ci_u32_e32 v21, vcc_lo, s7, v19, vcc_lo
	v_add_co_u32 v100, vcc_lo, 0x800, v110
	v_add_co_ci_u32_e32 v101, vcc_lo, 0, v111, vcc_lo
	v_add_co_u32 v22, vcc_lo, v20, s8
	v_add_co_ci_u32_e32 v23, vcc_lo, s7, v21, vcc_lo
	s_clause 0x1
	global_load_dwordx4 v[33:36], v[18:19], off
	global_load_dwordx4 v[37:40], v[20:21], off
	v_add_co_u32 v16, vcc_lo, v22, s8
	v_add_co_ci_u32_e32 v17, vcc_lo, s7, v23, vcc_lo
	s_clause 0x1
	global_load_dwordx4 v[41:44], v[22:23], off
	global_load_dwordx4 v[45:48], v[16:17], off
	v_add_co_u32 v24, vcc_lo, v16, s8
	v_add_co_ci_u32_e32 v25, vcc_lo, s7, v17, vcc_lo
	s_mov_b32 s0, 0x37e14327
	v_add_co_u32 v53, vcc_lo, v24, s8
	v_add_co_ci_u32_e32 v54, vcc_lo, s7, v25, vcc_lo
	s_clause 0x1
	global_load_dwordx4 v[20:23], v[100:101], off offset:192
	global_load_dwordx4 v[16:19], v[100:101], off offset:752
	global_load_dwordx4 v[49:52], v[24:25], off
	global_load_dwordx4 v[24:27], v[100:101], off offset:1312
	global_load_dwordx4 v[53:56], v[53:54], off
	s_load_dwordx4 s[8:11], s[10:11], 0x0
	s_mov_b32 s1, 0x3fe948f6
	s_mov_b32 s6, 0x36b3c0b5
	;; [unrolled: 1-line block ×3, first 2 shown]
	v_cmp_gt_u16_e32 vcc_lo, 14, v28
	s_waitcnt vmcnt(9)
	v_mul_f64 v[57:58], v[31:32], v[2:3]
	v_mul_f64 v[59:60], v[29:30], v[2:3]
	s_waitcnt vmcnt(8)
	v_mul_f64 v[61:62], v[35:36], v[6:7]
	v_mul_f64 v[63:64], v[33:34], v[6:7]
	;; [unrolled: 3-line block ×4, first 2 shown]
	v_fma_f64 v[29:30], v[29:30], v[0:1], v[57:58]
	v_fma_f64 v[31:32], v[31:32], v[0:1], -v[59:60]
	v_mul_u32_u24_e32 v57, 0xf5, v86
	s_waitcnt vmcnt(4)
	v_mul_f64 v[73:74], v[47:48], v[22:23]
	v_mul_f64 v[75:76], v[45:46], v[22:23]
	s_waitcnt vmcnt(2)
	v_mul_f64 v[77:78], v[51:52], v[18:19]
	v_mul_f64 v[79:80], v[49:50], v[18:19]
	s_waitcnt vmcnt(0)
	v_mul_f64 v[81:82], v[55:56], v[26:27]
	v_mul_f64 v[83:84], v[53:54], v[26:27]
	v_lshlrev_b32_e32 v127, 4, v57
	v_fma_f64 v[33:34], v[33:34], v[4:5], v[61:62]
	v_fma_f64 v[35:36], v[35:36], v[4:5], -v[63:64]
	v_fma_f64 v[37:38], v[37:38], v[8:9], v[65:66]
	v_fma_f64 v[39:40], v[39:40], v[8:9], -v[67:68]
	v_add_nc_u32_e32 v126, v85, v127
	v_fma_f64 v[41:42], v[41:42], v[12:13], v[69:70]
	v_fma_f64 v[43:44], v[43:44], v[12:13], -v[71:72]
	v_fma_f64 v[45:46], v[45:46], v[20:21], v[73:74]
	v_fma_f64 v[47:48], v[47:48], v[20:21], -v[75:76]
	;; [unrolled: 2-line block ×4, first 2 shown]
	ds_write_b128 v126, v[29:32]
	ds_write_b128 v126, v[33:36] offset:560
	ds_write_b128 v126, v[37:40] offset:1120
	;; [unrolled: 1-line block ×6, first 2 shown]
	s_waitcnt lgkmcnt(0)
	s_barrier
	buffer_gl0_inv
	ds_read_b128 v[29:32], v126 offset:560
	ds_read_b128 v[33:36], v126 offset:3360
	;; [unrolled: 1-line block ×6, first 2 shown]
	s_waitcnt lgkmcnt(4)
	v_add_f64 v[53:54], v[29:30], v[33:34]
	v_add_f64 v[55:56], v[31:32], v[35:36]
	s_waitcnt lgkmcnt(2)
	v_add_f64 v[57:58], v[41:42], v[37:38]
	v_add_f64 v[59:60], v[43:44], v[39:40]
	;; [unrolled: 3-line block ×3, first 2 shown]
	v_add_f64 v[37:38], v[41:42], -v[37:38]
	v_add_f64 v[39:40], v[43:44], -v[39:40]
	;; [unrolled: 1-line block ×6, first 2 shown]
	ds_read_b128 v[29:32], v126
	s_waitcnt lgkmcnt(0)
	s_barrier
	buffer_gl0_inv
	v_add_f64 v[45:46], v[57:58], v[53:54]
	v_add_f64 v[47:48], v[59:60], v[55:56]
	v_add_f64 v[49:50], v[53:54], -v[61:62]
	v_add_f64 v[51:52], v[55:56], -v[63:64]
	;; [unrolled: 1-line block ×10, first 2 shown]
	v_add_f64 v[37:38], v[41:42], v[37:38]
	v_add_f64 v[39:40], v[43:44], v[39:40]
	v_add_f64 v[41:42], v[33:34], -v[41:42]
	v_add_f64 v[43:44], v[35:36], -v[43:44]
	v_add_f64 v[45:46], v[61:62], v[45:46]
	v_add_f64 v[47:48], v[63:64], v[47:48]
	v_mul_f64 v[49:50], v[49:50], s[0:1]
	v_mul_f64 v[51:52], v[51:52], s[0:1]
	s_mov_b32 s0, 0x429ad128
	v_mul_f64 v[57:58], v[65:66], s[6:7]
	v_mul_f64 v[59:60], v[67:68], s[6:7]
	;; [unrolled: 1-line block ×4, first 2 shown]
	s_mov_b32 s1, 0x3febfeb5
	s_mov_b32 s12, 0xaaaaaaaa
	v_mul_f64 v[69:70], v[73:74], s[0:1]
	v_mul_f64 v[71:72], v[75:76], s[0:1]
	s_mov_b32 s13, 0xbff2aaaa
	v_add_f64 v[33:34], v[37:38], v[33:34]
	v_add_f64 v[35:36], v[39:40], v[35:36]
	;; [unrolled: 1-line block ×4, first 2 shown]
	v_fma_f64 v[37:38], v[65:66], s[6:7], v[49:50]
	v_fma_f64 v[39:40], v[67:68], s[6:7], v[51:52]
	v_fma_f64 v[57:58], v[53:54], s[14:15], -v[57:58]
	v_fma_f64 v[59:60], v[55:56], s[14:15], -v[59:60]
	s_mov_b32 s15, 0xbfe77f67
	v_fma_f64 v[65:66], v[41:42], s[16:17], v[61:62]
	v_fma_f64 v[67:68], v[43:44], s[16:17], v[63:64]
	s_mov_b32 s17, 0xbfd5d0dc
	v_fma_f64 v[49:50], v[53:54], s[14:15], -v[49:50]
	v_fma_f64 v[41:42], v[41:42], s[16:17], -v[69:70]
	;; [unrolled: 1-line block ×6, first 2 shown]
	s_mov_b32 s0, 0x37c3f68c
	s_mov_b32 s1, 0x3fdc38aa
                                        ; implicit-def: $vgpr76_vgpr77
	v_fma_f64 v[45:46], v[45:46], s[12:13], v[29:30]
	v_fma_f64 v[47:48], v[47:48], s[12:13], v[31:32]
	;; [unrolled: 1-line block ×8, first 2 shown]
	v_add_f64 v[69:70], v[37:38], v[45:46]
	v_add_f64 v[71:72], v[39:40], v[47:48]
	;; [unrolled: 1-line block ×7, first 2 shown]
	v_add_f64 v[35:36], v[71:72], -v[53:54]
	v_add_f64 v[37:38], v[49:50], v[67:68]
	v_add_f64 v[39:40], v[51:52], -v[65:66]
	v_add_f64 v[41:42], v[45:46], -v[63:64]
	v_add_f64 v[43:44], v[61:62], v[47:48]
	v_add_f64 v[45:46], v[45:46], v[63:64]
	v_add_f64 v[47:48], v[47:48], -v[61:62]
	v_add_f64 v[60:61], v[49:50], -v[67:68]
	v_add_f64 v[62:63], v[65:66], v[51:52]
	v_add_f64 v[68:69], v[69:70], -v[55:56]
	v_add_f64 v[70:71], v[53:54], v[71:72]
	v_mul_lo_u16 v49, v28, 7
                                        ; implicit-def: $vgpr72_vgpr73
	v_and_b32_e32 v49, 0xffff, v49
	v_lshl_add_u32 v112, v49, 4, v127
	ds_write_b128 v112, v[29:32]
	ds_write_b128 v112, v[33:36] offset:16
	ds_write_b128 v112, v[37:40] offset:32
	;; [unrolled: 1-line block ×6, first 2 shown]
	s_waitcnt lgkmcnt(0)
	s_barrier
	buffer_gl0_inv
	ds_read_b128 v[64:67], v126
	ds_read_b128 v[92:95], v126 offset:784
	ds_read_b128 v[88:91], v126 offset:1568
	;; [unrolled: 1-line block ×4, first 2 shown]
	s_and_saveexec_b32 s0, vcc_lo
	s_cbranch_execz .LBB0_3
; %bb.2:
	ds_read_b128 v[60:63], v126 offset:560
	ds_read_b128 v[68:71], v126 offset:1344
	;; [unrolled: 1-line block ×5, first 2 shown]
.LBB0_3:
	s_or_b32 exec_lo, exec_lo, s0
	v_and_b32_e32 v28, 0xff, v125
	v_add_nc_u16 v29, v125, 35
	s_mov_b32 s0, 0x134454ff
	s_mov_b32 s1, 0x3fee6f0e
	;; [unrolled: 1-line block ×3, first 2 shown]
	v_mul_lo_u16 v28, v28, 37
	v_and_b32_e32 v30, 0xff, v29
	s_mov_b32 s6, s0
	s_mov_b32 s12, 0x4755a5e
	s_mov_b32 s13, 0x3fe2cf23
	v_lshrrev_b16 v28, 8, v28
	v_mul_lo_u16 v30, v30, 37
	s_mov_b32 s15, 0xbfe2cf23
	s_mov_b32 s14, s12
	v_sub_nc_u16 v31, v125, v28
	v_lshrrev_b16 v30, 8, v30
	v_lshrrev_b16 v31, 1, v31
	v_sub_nc_u16 v32, v29, v30
	v_and_b32_e32 v31, 0x7f, v31
	v_lshrrev_b16 v32, 1, v32
	v_add_nc_u16 v28, v31, v28
	v_and_b32_e32 v31, 0x7f, v32
	v_lshrrev_b16 v123, 2, v28
	v_add_nc_u16 v28, v31, v30
	v_mul_lo_u16 v30, v123, 7
	v_lshrrev_b16 v128, 2, v28
	v_mov_b32_e32 v28, 6
	v_sub_nc_u16 v184, v125, v30
	v_mul_lo_u16 v30, v128, 7
	v_lshlrev_b32_sdwa v31, v28, v184 dst_sel:DWORD dst_unused:UNUSED_PAD src0_sel:DWORD src1_sel:BYTE_0
	v_sub_nc_u16 v129, v29, v30
	s_clause 0x1
	global_load_dwordx4 v[48:51], v31, s[2:3]
	global_load_dwordx4 v[44:47], v31, s[2:3] offset:16
	v_lshlrev_b32_sdwa v32, v28, v129 dst_sel:DWORD dst_unused:UNUSED_PAD src0_sel:DWORD src1_sel:BYTE_0
	s_clause 0x5
	global_load_dwordx4 v[56:59], v31, s[2:3] offset:32
	global_load_dwordx4 v[52:55], v31, s[2:3] offset:48
	global_load_dwordx4 v[28:31], v32, s[2:3]
	global_load_dwordx4 v[40:43], v32, s[2:3] offset:16
	global_load_dwordx4 v[36:39], v32, s[2:3] offset:32
	;; [unrolled: 1-line block ×3, first 2 shown]
	s_waitcnt vmcnt(0) lgkmcnt(0)
	s_barrier
	buffer_gl0_inv
	v_mul_f64 v[113:114], v[82:83], v[58:59]
	v_mul_f64 v[102:103], v[94:95], v[50:51]
	;; [unrolled: 1-line block ×16, first 2 shown]
	v_fma_f64 v[113:114], v[80:81], v[56:57], -v[113:114]
	v_fma_f64 v[92:93], v[92:93], v[48:49], -v[102:103]
	v_fma_f64 v[94:95], v[94:95], v[48:49], v[104:105]
	v_fma_f64 v[88:89], v[88:89], v[44:45], -v[106:107]
	v_fma_f64 v[90:91], v[90:91], v[44:45], v[108:109]
	v_fma_f64 v[86:87], v[86:87], v[52:53], v[115:116]
	;; [unrolled: 1-line block ×3, first 2 shown]
	v_fma_f64 v[84:85], v[84:85], v[52:53], -v[119:120]
	v_fma_f64 v[82:83], v[68:69], v[28:29], -v[121:122]
	v_fma_f64 v[102:103], v[70:71], v[28:29], v[130:131]
	v_fma_f64 v[80:81], v[72:73], v[40:41], -v[132:133]
	v_fma_f64 v[70:71], v[76:77], v[36:37], -v[134:135]
	v_fma_f64 v[76:77], v[74:75], v[40:41], v[136:137]
	v_fma_f64 v[68:69], v[96:97], v[32:33], -v[138:139]
	v_fma_f64 v[74:75], v[78:79], v[36:37], v[140:141]
	v_fma_f64 v[72:73], v[98:99], v[32:33], v[142:143]
	v_add_f64 v[106:107], v[64:65], v[92:93]
	v_add_f64 v[142:143], v[66:67], v[94:95]
	;; [unrolled: 1-line block ×3, first 2 shown]
	v_add_f64 v[108:109], v[92:93], -v[88:89]
	v_add_f64 v[104:105], v[94:95], v[86:87]
	v_add_f64 v[98:99], v[90:91], v[115:116]
	;; [unrolled: 1-line block ×3, first 2 shown]
	v_add_f64 v[117:118], v[94:95], -v[86:87]
	v_add_f64 v[119:120], v[90:91], -v[115:116]
	;; [unrolled: 1-line block ×3, first 2 shown]
	v_add_f64 v[132:133], v[80:81], v[70:71]
	v_add_f64 v[136:137], v[113:114], -v[84:85]
	v_add_f64 v[134:135], v[82:83], v[68:69]
	v_add_f64 v[138:139], v[76:77], v[74:75]
	;; [unrolled: 1-line block ×3, first 2 shown]
	v_add_f64 v[92:93], v[92:93], -v[84:85]
	v_add_f64 v[150:151], v[88:89], -v[113:114]
	;; [unrolled: 1-line block ×9, first 2 shown]
	v_fma_f64 v[156:157], v[78:79], -0.5, v[64:65]
	v_add_f64 v[78:79], v[102:103], -v[72:73]
	v_fma_f64 v[164:165], v[104:105], -0.5, v[66:67]
	v_fma_f64 v[162:163], v[98:99], -0.5, v[66:67]
	v_fma_f64 v[160:161], v[96:97], -0.5, v[64:65]
	v_add_f64 v[96:97], v[76:77], -v[74:75]
	v_add_f64 v[104:105], v[82:83], -v[68:69]
	;; [unrolled: 1-line block ×3, first 2 shown]
	v_fma_f64 v[64:65], v[132:133], -0.5, v[60:61]
	v_add_f64 v[158:159], v[80:81], -v[82:83]
	v_fma_f64 v[132:133], v[134:135], -0.5, v[60:61]
	v_fma_f64 v[66:67], v[138:139], -0.5, v[62:63]
	;; [unrolled: 1-line block ×3, first 2 shown]
	v_add_f64 v[138:139], v[70:71], -v[68:69]
	v_add_f64 v[140:141], v[102:103], -v[76:77]
	v_add_f64 v[166:167], v[72:73], -v[74:75]
	v_add_f64 v[168:169], v[76:77], -v[102:103]
	v_add_f64 v[170:171], v[74:75], -v[72:73]
	v_add_f64 v[172:173], v[130:131], v[136:137]
	v_add_f64 v[88:89], v[106:107], v[88:89]
	;; [unrolled: 1-line block ×4, first 2 shown]
	v_fma_f64 v[130:131], v[117:118], s[0:1], v[156:157]
	v_fma_f64 v[136:137], v[117:118], s[6:7], v[156:157]
	;; [unrolled: 1-line block ×9, first 2 shown]
	v_add_f64 v[144:145], v[144:145], v[146:147]
	v_fma_f64 v[178:179], v[96:97], s[6:7], v[132:133]
	v_fma_f64 v[132:133], v[96:97], s[0:1], v[132:133]
	;; [unrolled: 1-line block ×5, first 2 shown]
	v_add_f64 v[94:95], v[94:95], v[148:149]
	v_add_f64 v[106:107], v[152:153], v[154:155]
	;; [unrolled: 1-line block ×7, first 2 shown]
	v_fma_f64 v[130:131], v[119:120], s[12:13], v[130:131]
	v_fma_f64 v[136:137], v[119:120], s[14:15], v[136:137]
	;; [unrolled: 1-line block ×9, first 2 shown]
	s_mov_b32 s6, 0x372fe950
	v_fma_f64 v[156:157], v[78:79], s[12:13], v[178:179]
	v_fma_f64 v[158:159], v[78:79], s[14:15], v[132:133]
	;; [unrolled: 1-line block ×5, first 2 shown]
	s_mov_b32 s7, 0x3fd3c6ef
	v_mov_b32_e32 v113, 35
	v_add_f64 v[114:115], v[88:89], v[84:85]
	v_add_f64 v[116:117], v[90:91], v[86:87]
	v_fma_f64 v[118:119], v[121:122], s[6:7], v[130:131]
	v_fma_f64 v[131:132], v[121:122], s[6:7], v[136:137]
	v_mul_u32_u24_sdwa v122, v123, v113 dst_sel:DWORD dst_unused:UNUSED_PAD src0_sel:WORD_0 src1_sel:DWORD
	v_fma_f64 v[135:136], v[172:173], s[6:7], v[138:139]
	v_fma_f64 v[139:140], v[172:173], s[6:7], v[140:141]
	;; [unrolled: 1-line block ×12, first 2 shown]
	v_add_nc_u32_sdwa v122, v122, v184 dst_sel:DWORD dst_unused:UNUSED_PAD src0_sel:DWORD src1_sel:BYTE_0
	v_lshl_add_u32 v130, v122, 4, v127
	ds_write_b128 v130, v[114:117]
	ds_write_b128 v130, v[118:121] offset:112
	ds_write_b128 v130, v[135:138] offset:224
	;; [unrolled: 1-line block ×4, first 2 shown]
	s_and_saveexec_b32 s14, vcc_lo
	s_cbranch_execz .LBB0_5
; %bb.4:
	v_mul_f64 v[104:105], v[104:105], s[0:1]
	v_add_f64 v[62:63], v[62:63], v[102:103]
	v_add_f64 v[60:61], v[60:61], v[82:83]
	v_mul_f64 v[78:79], v[78:79], s[0:1]
	v_mul_f64 v[82:83], v[96:97], s[12:13]
	;; [unrolled: 1-line block ×3, first 2 shown]
	v_add_f64 v[66:67], v[66:67], -v[104:105]
	v_add_f64 v[62:63], v[62:63], v[76:77]
	v_add_f64 v[60:61], v[60:61], v[80:81]
	;; [unrolled: 1-line block ×3, first 2 shown]
	v_mul_f64 v[78:79], v[108:109], s[6:7]
	v_mul_f64 v[76:77], v[106:107], s[6:7]
	v_add_f64 v[66:67], v[66:67], -v[96:97]
	v_add_f64 v[74:75], v[62:63], v[74:75]
	v_add_f64 v[60:61], v[60:61], v[70:71]
	;; [unrolled: 1-line block ×7, first 2 shown]
	v_mul_u32_u24_sdwa v68, v128, v113 dst_sel:DWORD dst_unused:UNUSED_PAD src0_sel:WORD_0 src1_sel:DWORD
	v_add_nc_u32_sdwa v68, v68, v129 dst_sel:DWORD dst_unused:UNUSED_PAD src0_sel:DWORD src1_sel:BYTE_0
	v_lshl_add_u32 v68, v68, 4, v127
	ds_write_b128 v68, v[84:87] offset:224
	ds_write_b128 v68, v[88:91] offset:336
	ds_write_b128 v68, v[64:67]
	ds_write_b128 v68, v[60:63] offset:112
	ds_write_b128 v68, v[92:95] offset:448
.LBB0_5:
	s_or_b32 exec_lo, exec_lo, s14
	v_mad_u64_u32 v[72:73], null, 0x60, v125, s[2:3]
	s_waitcnt lgkmcnt(0)
	s_barrier
	buffer_gl0_inv
	s_mov_b32 s6, 0x37e14327
	s_mov_b32 s7, 0x3fe948f6
	;; [unrolled: 1-line block ×3, first 2 shown]
	s_clause 0x5
	global_load_dwordx4 v[64:67], v[72:73], off offset:448
	global_load_dwordx4 v[60:63], v[72:73], off offset:464
	;; [unrolled: 1-line block ×6, first 2 shown]
	ds_read_b128 v[96:99], v126 offset:560
	ds_read_b128 v[102:105], v126 offset:1120
	;; [unrolled: 1-line block ×6, first 2 shown]
	s_mov_b32 s18, 0xe976ee23
	s_mov_b32 s12, 0x429ad128
	;; [unrolled: 1-line block ×19, first 2 shown]
	s_waitcnt vmcnt(5) lgkmcnt(5)
	v_mul_f64 v[121:122], v[98:99], v[66:67]
	v_mul_f64 v[135:136], v[96:97], v[66:67]
	s_waitcnt vmcnt(4) lgkmcnt(4)
	v_mul_f64 v[137:138], v[104:105], v[62:63]
	v_mul_f64 v[139:140], v[102:103], v[62:63]
	;; [unrolled: 3-line block ×6, first 2 shown]
	v_fma_f64 v[96:97], v[96:97], v[64:65], -v[121:122]
	v_fma_f64 v[98:99], v[98:99], v[64:65], v[135:136]
	v_fma_f64 v[102:103], v[102:103], v[60:61], -v[137:138]
	v_fma_f64 v[104:105], v[104:105], v[60:61], v[139:140]
	;; [unrolled: 2-line block ×6, first 2 shown]
	v_add_f64 v[133:134], v[96:97], v[106:107]
	v_add_f64 v[135:136], v[98:99], v[108:109]
	;; [unrolled: 1-line block ×4, first 2 shown]
	v_add_f64 v[102:103], v[102:103], -v[113:114]
	v_add_f64 v[104:105], v[104:105], -v[115:116]
	v_add_f64 v[113:114], v[117:118], v[121:122]
	v_add_f64 v[115:116], v[119:120], v[131:132]
	v_add_f64 v[117:118], v[121:122], -v[117:118]
	v_add_f64 v[119:120], v[131:132], -v[119:120]
	;; [unrolled: 1-line block ×4, first 2 shown]
	ds_read_b128 v[96:99], v126
	v_add_f64 v[121:122], v[137:138], v[133:134]
	v_add_f64 v[131:132], v[139:140], v[135:136]
	v_add_f64 v[141:142], v[133:134], -v[113:114]
	v_add_f64 v[143:144], v[135:136], -v[115:116]
	;; [unrolled: 1-line block ×6, first 2 shown]
	v_add_f64 v[102:103], v[117:118], v[102:103]
	v_add_f64 v[104:105], v[119:120], v[104:105]
	v_add_f64 v[117:118], v[106:107], -v[117:118]
	v_add_f64 v[119:120], v[108:109], -v[119:120]
	;; [unrolled: 1-line block ×4, first 2 shown]
	v_add_f64 v[121:122], v[113:114], v[121:122]
	v_add_f64 v[131:132], v[115:116], v[131:132]
	v_add_f64 v[113:114], v[113:114], -v[137:138]
	v_add_f64 v[115:116], v[115:116], -v[139:140]
	v_mul_f64 v[141:142], v[141:142], s[6:7]
	v_mul_f64 v[143:144], v[143:144], s[6:7]
	;; [unrolled: 1-line block ×6, first 2 shown]
	v_add_f64 v[102:103], v[102:103], v[106:107]
	v_add_f64 v[104:105], v[104:105], v[108:109]
	s_mov_b32 s19, 0x3fe11646
	s_waitcnt lgkmcnt(0)
	v_add_f64 v[96:97], v[96:97], v[121:122]
	v_add_f64 v[98:99], v[98:99], v[131:132]
	v_mul_f64 v[139:140], v[113:114], s[2:3]
	v_mul_f64 v[155:156], v[115:116], s[2:3]
	v_fma_f64 v[106:107], v[113:114], s[2:3], v[141:142]
	v_fma_f64 v[108:109], v[115:116], s[2:3], v[143:144]
	;; [unrolled: 1-line block ×6, first 2 shown]
	v_fma_f64 v[137:138], v[133:134], s[20:21], -v[141:142]
	v_fma_f64 v[141:142], v[135:136], s[20:21], -v[143:144]
	;; [unrolled: 1-line block ×4, first 2 shown]
	v_fma_f64 v[121:122], v[121:122], s[14:15], v[96:97]
	v_fma_f64 v[131:132], v[131:132], s[14:15], v[98:99]
	v_fma_f64 v[133:134], v[133:134], s[16:17], -v[139:140]
	v_fma_f64 v[135:136], v[135:136], s[16:17], -v[155:156]
	v_fma_f64 v[139:140], v[102:103], s[26:27], v[113:114]
	v_fma_f64 v[143:144], v[104:105], s[26:27], v[115:116]
	;; [unrolled: 1-line block ×6, first 2 shown]
	s_mov_b32 s27, 0xbfdc38aa
	v_add_f64 v[153:154], v[106:107], v[121:122]
	v_add_f64 v[155:156], v[108:109], v[131:132]
	;; [unrolled: 1-line block ×6, first 2 shown]
	v_add_co_u32 v121, s0, 0xf50, v110
	v_add_co_ci_u32_e64 v122, s0, 0, v111, s0
	v_add_f64 v[102:103], v[143:144], v[153:154]
	v_add_f64 v[104:105], v[155:156], -v[139:140]
	v_add_f64 v[106:107], v[151:152], v[137:138]
	v_add_f64 v[108:109], v[141:142], -v[149:150]
	v_add_f64 v[113:114], v[117:118], -v[147:148]
	v_add_f64 v[115:116], v[145:146], v[119:120]
	v_add_f64 v[117:118], v[147:148], v[117:118]
	v_add_f64 v[119:120], v[119:120], -v[145:146]
	v_add_f64 v[131:132], v[137:138], -v[151:152]
	v_add_f64 v[133:134], v[149:150], v[141:142]
	v_add_f64 v[135:136], v[153:154], -v[143:144]
	v_add_f64 v[137:138], v[139:140], v[155:156]
	ds_write_b128 v126, v[96:99]
	ds_write_b128 v126, v[102:105] offset:560
	ds_write_b128 v126, v[106:109] offset:1120
	;; [unrolled: 1-line block ×6, first 2 shown]
	s_waitcnt lgkmcnt(0)
	s_barrier
	buffer_gl0_inv
	s_clause 0x1
	global_load_dwordx4 v[96:99], v[100:101], off offset:1872
	global_load_dwordx4 v[100:103], v[121:122], off offset:560
	v_add_co_u32 v131, s0, 0x1800, v110
	v_add_co_ci_u32_e64 v132, s0, 0, v111, s0
	s_clause 0x4
	global_load_dwordx4 v[104:107], v[121:122], off offset:1120
	global_load_dwordx4 v[108:111], v[121:122], off offset:1680
	;; [unrolled: 1-line block ×5, first 2 shown]
	ds_read_b128 v[135:138], v126
	ds_read_b128 v[139:142], v126 offset:560
	ds_read_b128 v[143:146], v126 offset:1120
	;; [unrolled: 1-line block ×6, first 2 shown]
	s_waitcnt vmcnt(6) lgkmcnt(6)
	v_mul_f64 v[121:122], v[137:138], v[98:99]
	v_mul_f64 v[98:99], v[135:136], v[98:99]
	s_waitcnt vmcnt(5) lgkmcnt(5)
	v_mul_f64 v[163:164], v[141:142], v[102:103]
	v_mul_f64 v[102:103], v[139:140], v[102:103]
	;; [unrolled: 3-line block ×7, first 2 shown]
	v_fma_f64 v[119:120], v[135:136], v[96:97], -v[121:122]
	v_fma_f64 v[121:122], v[137:138], v[96:97], v[98:99]
	v_fma_f64 v[96:97], v[139:140], v[100:101], -v[163:164]
	v_fma_f64 v[98:99], v[141:142], v[100:101], v[102:103]
	;; [unrolled: 2-line block ×7, first 2 shown]
	ds_write_b128 v126, v[119:122]
	ds_write_b128 v126, v[96:99] offset:560
	ds_write_b128 v126, v[100:103] offset:1120
	;; [unrolled: 1-line block ×6, first 2 shown]
	s_waitcnt lgkmcnt(0)
	s_barrier
	buffer_gl0_inv
	ds_read_b128 v[96:99], v126 offset:560
	ds_read_b128 v[100:103], v126 offset:3360
	;; [unrolled: 1-line block ×6, first 2 shown]
	s_waitcnt lgkmcnt(4)
	v_add_f64 v[121:122], v[96:97], v[100:101]
	v_add_f64 v[131:132], v[98:99], v[102:103]
	s_waitcnt lgkmcnt(2)
	v_add_f64 v[133:134], v[108:109], v[104:105]
	v_add_f64 v[135:136], v[110:111], v[106:107]
	v_add_f64 v[104:105], v[108:109], -v[104:105]
	v_add_f64 v[106:107], v[110:111], -v[106:107]
	s_waitcnt lgkmcnt(0)
	v_add_f64 v[108:109], v[117:118], v[113:114]
	v_add_f64 v[110:111], v[119:120], v[115:116]
	v_add_f64 v[113:114], v[113:114], -v[117:118]
	v_add_f64 v[115:116], v[115:116], -v[119:120]
	;; [unrolled: 1-line block ×4, first 2 shown]
	v_add_f64 v[96:97], v[133:134], v[121:122]
	v_add_f64 v[98:99], v[135:136], v[131:132]
	v_add_f64 v[117:118], v[121:122], -v[108:109]
	v_add_f64 v[119:120], v[131:132], -v[110:111]
	;; [unrolled: 1-line block ×6, first 2 shown]
	v_add_f64 v[149:150], v[113:114], v[104:105]
	v_add_f64 v[151:152], v[115:116], v[106:107]
	v_add_f64 v[113:114], v[100:101], -v[113:114]
	v_add_f64 v[115:116], v[102:103], -v[115:116]
	v_add_f64 v[145:146], v[108:109], v[96:97]
	v_add_f64 v[147:148], v[110:111], v[98:99]
	ds_read_b128 v[96:99], v126
	v_add_f64 v[108:109], v[108:109], -v[133:134]
	v_add_f64 v[110:111], v[110:111], -v[135:136]
	v_mul_f64 v[117:118], v[117:118], s[6:7]
	v_mul_f64 v[119:120], v[119:120], s[6:7]
	;; [unrolled: 1-line block ×6, first 2 shown]
	v_add_f64 v[100:101], v[149:150], v[100:101]
	v_add_f64 v[102:103], v[151:152], v[102:103]
	s_waitcnt lgkmcnt(0)
	s_barrier
	buffer_gl0_inv
	v_add_f64 v[104:105], v[96:97], v[145:146]
	v_add_f64 v[106:107], v[98:99], v[147:148]
	v_add_f64 v[96:97], v[133:134], -v[121:122]
	v_add_f64 v[98:99], v[135:136], -v[131:132]
	v_mul_f64 v[121:122], v[108:109], s[2:3]
	v_mul_f64 v[131:132], v[110:111], s[2:3]
	v_fma_f64 v[108:109], v[108:109], s[2:3], v[117:118]
	v_fma_f64 v[110:111], v[110:111], s[2:3], v[119:120]
	;; [unrolled: 1-line block ×4, first 2 shown]
	v_fma_f64 v[137:138], v[141:142], s[12:13], -v[137:138]
	v_fma_f64 v[139:140], v[143:144], s[12:13], -v[139:140]
	v_fma_f64 v[113:114], v[113:114], s[22:23], v[153:154]
	v_fma_f64 v[115:116], v[115:116], s[22:23], v[155:156]
	;; [unrolled: 1-line block ×4, first 2 shown]
	v_fma_f64 v[117:118], v[96:97], s[20:21], -v[117:118]
	v_fma_f64 v[119:120], v[98:99], s[20:21], -v[119:120]
	;; [unrolled: 1-line block ×4, first 2 shown]
	v_fma_f64 v[121:122], v[100:101], s[26:27], v[133:134]
	v_fma_f64 v[135:136], v[102:103], s[26:27], v[135:136]
	;; [unrolled: 1-line block ×6, first 2 shown]
	v_add_f64 v[137:138], v[108:109], v[141:142]
	v_add_f64 v[139:140], v[110:111], v[143:144]
	;; [unrolled: 1-line block ×7, first 2 shown]
	v_add_f64 v[110:111], v[139:140], -v[121:122]
	v_add_f64 v[113:114], v[145:146], v[102:103]
	v_add_f64 v[115:116], v[147:148], -v[100:101]
	v_add_f64 v[117:118], v[96:97], -v[131:132]
	v_add_f64 v[119:120], v[133:134], v[98:99]
	v_add_f64 v[131:132], v[96:97], v[131:132]
	v_add_f64 v[133:134], v[98:99], -v[133:134]
	v_add_f64 v[96:97], v[145:146], -v[102:103]
	v_add_f64 v[98:99], v[100:101], v[147:148]
	v_add_f64 v[100:101], v[137:138], -v[135:136]
	v_add_f64 v[102:103], v[121:122], v[139:140]
	ds_write_b128 v112, v[104:107]
	ds_write_b128 v112, v[108:111] offset:16
	ds_write_b128 v112, v[113:116] offset:32
	;; [unrolled: 1-line block ×6, first 2 shown]
	s_waitcnt lgkmcnt(0)
	s_barrier
	buffer_gl0_inv
	ds_read_b128 v[104:107], v126
	ds_read_b128 v[120:123], v126 offset:784
	ds_read_b128 v[108:111], v126 offset:1568
	;; [unrolled: 1-line block ×4, first 2 shown]
	s_and_saveexec_b32 s0, vcc_lo
	s_cbranch_execz .LBB0_7
; %bb.6:
	ds_read_b128 v[96:99], v126 offset:560
	ds_read_b128 v[100:103], v126 offset:1344
	;; [unrolled: 1-line block ×5, first 2 shown]
.LBB0_7:
	s_or_b32 exec_lo, exec_lo, s0
	s_waitcnt lgkmcnt(3)
	v_mul_f64 v[131:132], v[50:51], v[122:123]
	s_waitcnt lgkmcnt(2)
	v_mul_f64 v[133:134], v[46:47], v[110:111]
	;; [unrolled: 2-line block ×3, first 2 shown]
	v_mul_f64 v[50:51], v[50:51], v[120:121]
	s_waitcnt lgkmcnt(0)
	v_mul_f64 v[137:138], v[54:55], v[118:119]
	v_mul_f64 v[46:47], v[46:47], v[108:109]
	;; [unrolled: 1-line block ×4, first 2 shown]
	s_mov_b32 s0, 0x134454ff
	s_mov_b32 s1, 0xbfee6f0e
	;; [unrolled: 1-line block ×10, first 2 shown]
	s_barrier
	buffer_gl0_inv
	v_fma_f64 v[120:121], v[48:49], v[120:121], v[131:132]
	v_fma_f64 v[108:109], v[44:45], v[108:109], v[133:134]
	;; [unrolled: 1-line block ×3, first 2 shown]
	v_fma_f64 v[48:49], v[48:49], v[122:123], -v[50:51]
	v_fma_f64 v[50:51], v[52:53], v[116:117], v[137:138]
	v_fma_f64 v[44:45], v[44:45], v[110:111], -v[46:47]
	v_fma_f64 v[46:47], v[56:57], v[114:115], -v[58:59]
	;; [unrolled: 1-line block ×3, first 2 shown]
	v_add_f64 v[114:115], v[104:105], v[120:121]
	v_add_f64 v[54:55], v[108:109], v[112:113]
	v_add_f64 v[122:123], v[106:107], v[48:49]
	v_add_f64 v[56:57], v[120:121], v[50:51]
	v_add_f64 v[131:132], v[120:121], -v[50:51]
	v_add_f64 v[58:59], v[44:45], v[46:47]
	v_add_f64 v[110:111], v[48:49], v[52:53]
	v_add_f64 v[116:117], v[48:49], -v[52:53]
	v_add_f64 v[118:119], v[44:45], -v[46:47]
	;; [unrolled: 1-line block ×8, first 2 shown]
	v_fma_f64 v[54:55], v[54:55], -0.5, v[104:105]
	v_add_f64 v[44:45], v[122:123], v[44:45]
	v_fma_f64 v[56:57], v[56:57], -0.5, v[104:105]
	v_add_f64 v[104:105], v[108:109], -v[112:113]
	v_fma_f64 v[58:59], v[58:59], -0.5, v[106:107]
	v_fma_f64 v[106:107], v[110:111], -0.5, v[106:107]
	v_add_f64 v[110:111], v[120:121], -v[108:109]
	v_add_f64 v[120:121], v[108:109], -v[120:121]
	v_add_f64 v[108:109], v[114:115], v[108:109]
	v_fma_f64 v[114:115], v[116:117], s[0:1], v[54:55]
	v_fma_f64 v[54:55], v[116:117], s[2:3], v[54:55]
	;; [unrolled: 1-line block ×8, first 2 shown]
	v_add_f64 v[120:121], v[120:121], v[135:136]
	v_add_f64 v[135:136], v[48:49], v[141:142]
	;; [unrolled: 1-line block ×6, first 2 shown]
	v_fma_f64 v[108:109], v[118:119], s[12:13], v[114:115]
	v_fma_f64 v[54:55], v[118:119], s[6:7], v[54:55]
	;; [unrolled: 1-line block ×8, first 2 shown]
	v_add_f64 v[44:45], v[48:49], v[50:51]
	v_add_f64 v[46:47], v[46:47], v[52:53]
	v_fma_f64 v[48:49], v[110:111], s[14:15], v[108:109]
	v_fma_f64 v[52:53], v[110:111], s[14:15], v[54:55]
	;; [unrolled: 1-line block ×8, first 2 shown]
	ds_write_b128 v130, v[44:47]
	ds_write_b128 v130, v[48:51] offset:112
	ds_write_b128 v130, v[56:59] offset:224
	;; [unrolled: 1-line block ×4, first 2 shown]
	s_and_saveexec_b32 s16, vcc_lo
	s_cbranch_execz .LBB0_9
; %bb.8:
	v_mul_f64 v[44:45], v[42:43], v[84:85]
	v_mul_f64 v[46:47], v[30:31], v[100:101]
	;; [unrolled: 1-line block ×8, first 2 shown]
	v_fma_f64 v[44:45], v[40:41], v[86:87], -v[44:45]
	v_fma_f64 v[46:47], v[28:29], v[102:103], -v[46:47]
	;; [unrolled: 1-line block ×4, first 2 shown]
	v_fma_f64 v[40:41], v[40:41], v[84:85], v[42:43]
	v_fma_f64 v[36:37], v[36:37], v[88:89], v[38:39]
	v_fma_f64 v[28:29], v[28:29], v[100:101], v[30:31]
	v_fma_f64 v[32:33], v[32:33], v[92:93], v[34:35]
	v_add_f64 v[56:57], v[98:99], v[46:47]
	v_add_f64 v[30:31], v[46:47], v[48:49]
	;; [unrolled: 1-line block ×3, first 2 shown]
	v_add_f64 v[84:85], v[46:47], -v[48:49]
	v_add_f64 v[38:39], v[40:41], v[36:37]
	v_add_f64 v[58:59], v[96:97], v[28:29]
	v_add_f64 v[42:43], v[28:29], v[32:33]
	v_add_f64 v[52:53], v[40:41], -v[36:37]
	v_add_f64 v[54:55], v[28:29], -v[32:33]
	;; [unrolled: 1-line block ×9, first 2 shown]
	v_add_f64 v[44:45], v[56:57], v[44:45]
	v_fma_f64 v[30:31], v[30:31], -0.5, v[98:99]
	v_fma_f64 v[34:35], v[34:35], -0.5, v[98:99]
	v_add_f64 v[98:99], v[32:33], -v[36:37]
	v_fma_f64 v[38:39], v[38:39], -0.5, v[96:97]
	v_add_f64 v[40:41], v[58:59], v[40:41]
	v_fma_f64 v[42:43], v[42:43], -0.5, v[96:97]
	v_add_f64 v[96:97], v[36:37], -v[32:33]
	v_add_f64 v[46:47], v[46:47], v[92:93]
	v_add_f64 v[88:89], v[88:89], v[90:91]
	v_fma_f64 v[56:57], v[52:53], s[2:3], v[30:31]
	v_fma_f64 v[30:31], v[52:53], s[0:1], v[30:31]
	;; [unrolled: 1-line block ×8, first 2 shown]
	v_add_f64 v[92:93], v[28:29], v[98:99]
	v_add_f64 v[28:29], v[44:45], v[50:51]
	;; [unrolled: 1-line block ×4, first 2 shown]
	v_fma_f64 v[40:41], v[54:55], s[12:13], v[56:57]
	v_fma_f64 v[44:45], v[54:55], s[6:7], v[30:31]
	v_fma_f64 v[50:51], v[52:53], s[12:13], v[58:59]
	v_fma_f64 v[52:53], v[52:53], s[6:7], v[34:35]
	v_fma_f64 v[54:55], v[86:87], s[12:13], v[100:101]
	v_fma_f64 v[56:57], v[84:85], s[12:13], v[102:103]
	v_fma_f64 v[58:59], v[84:85], s[6:7], v[42:43]
	v_fma_f64 v[84:85], v[86:87], s[6:7], v[38:39]
	v_mov_b32_e32 v86, 35
	v_add_f64 v[30:31], v[28:29], v[48:49]
	v_add_f64 v[28:29], v[36:37], v[32:33]
	v_mul_u32_u24_sdwa v48, v128, v86 dst_sel:DWORD dst_unused:UNUSED_PAD src0_sel:WORD_0 src1_sel:DWORD
	v_add_nc_u32_sdwa v48, v48, v129 dst_sel:DWORD dst_unused:UNUSED_PAD src0_sel:DWORD src1_sel:BYTE_0
	v_fma_f64 v[34:35], v[88:89], s[14:15], v[40:41]
	v_fma_f64 v[38:39], v[88:89], s[14:15], v[44:45]
	;; [unrolled: 1-line block ×8, first 2 shown]
	v_lshl_add_u32 v48, v48, 4, v127
	ds_write_b128 v48, v[28:31]
	ds_write_b128 v48, v[44:47] offset:112
	ds_write_b128 v48, v[36:39] offset:224
	;; [unrolled: 1-line block ×4, first 2 shown]
.LBB0_9:
	s_or_b32 exec_lo, exec_lo, s16
	s_waitcnt lgkmcnt(0)
	s_barrier
	buffer_gl0_inv
	ds_read_b128 v[28:31], v126 offset:560
	ds_read_b128 v[32:35], v126 offset:1120
	;; [unrolled: 1-line block ×6, first 2 shown]
	s_mov_b32 s0, 0x37e14327
	s_mov_b32 s1, 0x3fe948f6
	;; [unrolled: 1-line block ×10, first 2 shown]
	s_waitcnt lgkmcnt(5)
	v_mul_f64 v[52:53], v[66:67], v[30:31]
	v_mul_f64 v[54:55], v[66:67], v[28:29]
	s_waitcnt lgkmcnt(4)
	v_mul_f64 v[56:57], v[62:63], v[34:35]
	v_mul_f64 v[58:59], v[62:63], v[32:33]
	;; [unrolled: 3-line block ×6, first 2 shown]
	v_fma_f64 v[28:29], v[64:65], v[28:29], v[52:53]
	v_fma_f64 v[30:31], v[64:65], v[30:31], -v[54:55]
	v_fma_f64 v[32:33], v[60:61], v[32:33], v[56:57]
	v_fma_f64 v[34:35], v[60:61], v[34:35], -v[58:59]
	;; [unrolled: 2-line block ×6, first 2 shown]
	v_add_f64 v[52:53], v[28:29], v[36:37]
	v_add_f64 v[54:55], v[30:31], v[38:39]
	;; [unrolled: 1-line block ×4, first 2 shown]
	v_add_f64 v[32:33], v[32:33], -v[40:41]
	v_add_f64 v[34:35], v[34:35], -v[42:43]
	v_add_f64 v[60:61], v[44:45], v[48:49]
	v_add_f64 v[62:63], v[46:47], v[50:51]
	v_add_f64 v[40:41], v[48:49], -v[44:45]
	v_add_f64 v[42:43], v[50:51], -v[46:47]
	;; [unrolled: 1-line block ×4, first 2 shown]
	ds_read_b128 v[28:31], v126
	v_add_f64 v[44:45], v[56:57], v[52:53]
	v_add_f64 v[46:47], v[58:59], v[54:55]
	v_add_f64 v[48:49], v[52:53], -v[60:61]
	v_add_f64 v[50:51], v[54:55], -v[62:63]
	;; [unrolled: 1-line block ×10, first 2 shown]
	v_add_f64 v[32:33], v[40:41], v[32:33]
	v_add_f64 v[34:35], v[42:43], v[34:35]
	v_add_f64 v[40:41], v[36:37], -v[40:41]
	v_add_f64 v[42:43], v[38:39], -v[42:43]
	v_add_f64 v[44:45], v[60:61], v[44:45]
	v_add_f64 v[46:47], v[62:63], v[46:47]
	v_mul_f64 v[48:49], v[48:49], s[0:1]
	v_mul_f64 v[50:51], v[50:51], s[0:1]
	s_mov_b32 s0, 0x429ad128
	v_mul_f64 v[56:57], v[64:65], s[2:3]
	v_mul_f64 v[58:59], v[66:67], s[2:3]
	;; [unrolled: 1-line block ×4, first 2 shown]
	s_mov_b32 s1, 0xbfebfeb5
	s_mov_b32 s6, 0xaaaaaaaa
	v_mul_f64 v[68:69], v[72:73], s[0:1]
	v_mul_f64 v[70:71], v[74:75], s[0:1]
	s_mov_b32 s7, 0xbff2aaaa
	v_add_f64 v[32:33], v[32:33], v[36:37]
	v_add_f64 v[34:35], v[34:35], v[38:39]
	s_waitcnt lgkmcnt(0)
	v_add_f64 v[28:29], v[28:29], v[44:45]
	v_add_f64 v[30:31], v[30:31], v[46:47]
	v_fma_f64 v[36:37], v[64:65], s[2:3], v[48:49]
	v_fma_f64 v[38:39], v[66:67], s[2:3], v[50:51]
	s_mul_i32 s2, s8, 0x230
	v_fma_f64 v[56:57], v[52:53], s[12:13], -v[56:57]
	v_fma_f64 v[58:59], v[54:55], s[12:13], -v[58:59]
	s_mov_b32 s13, 0xbfe77f67
	v_fma_f64 v[64:65], v[40:41], s[14:15], v[60:61]
	v_fma_f64 v[66:67], v[42:43], s[14:15], v[62:63]
	s_mov_b32 s15, 0x3fd5d0dc
	v_fma_f64 v[48:49], v[52:53], s[12:13], -v[48:49]
	v_fma_f64 v[40:41], v[40:41], s[14:15], -v[68:69]
	v_fma_f64 v[42:43], v[42:43], s[14:15], -v[70:71]
	v_fma_f64 v[50:51], v[54:55], s[12:13], -v[50:51]
	v_fma_f64 v[60:61], v[72:73], s[0:1], -v[60:61]
	v_fma_f64 v[62:63], v[74:75], s[0:1], -v[62:63]
	s_mov_b32 s0, 0x37c3f68c
	s_mov_b32 s1, 0xbfdc38aa
	v_fma_f64 v[44:45], v[44:45], s[6:7], v[28:29]
	v_fma_f64 v[46:47], v[46:47], s[6:7], v[30:31]
	;; [unrolled: 1-line block ×8, first 2 shown]
	s_mul_i32 s0, s9, 0x230
	s_mul_hi_u32 s1, s8, 0x230
	v_add_f64 v[68:69], v[36:37], v[44:45]
	v_add_f64 v[70:71], v[38:39], v[46:47]
	;; [unrolled: 1-line block ×6, first 2 shown]
	v_mad_u64_u32 v[56:57], null, s10, v124, 0
	v_mad_u64_u32 v[58:59], null, s8, v125, 0
	s_add_i32 s3, s1, s0
	s_mov_b32 s0, 0xec259dc8
	s_mov_b32 s1, 0x3f70b7e6
	v_add_f64 v[32:33], v[52:53], v[68:69]
	v_add_f64 v[34:35], v[70:71], -v[54:55]
	v_add_f64 v[36:37], v[66:67], v[48:49]
	v_add_f64 v[38:39], v[50:51], -v[64:65]
	v_add_f64 v[40:41], v[44:45], -v[62:63]
	v_add_f64 v[42:43], v[60:61], v[46:47]
	v_add_f64 v[44:45], v[62:63], v[44:45]
	v_add_f64 v[46:47], v[46:47], -v[60:61]
	v_add_f64 v[48:49], v[48:49], -v[66:67]
	v_add_f64 v[50:51], v[64:65], v[50:51]
	v_add_f64 v[52:53], v[68:69], -v[52:53]
	v_add_f64 v[54:55], v[54:55], v[70:71]
	v_mad_u64_u32 v[60:61], null, s11, v124, v[57:58]
	ds_write_b128 v126, v[28:31]
	ds_write_b128 v126, v[32:35] offset:560
	ds_write_b128 v126, v[36:39] offset:1120
	;; [unrolled: 1-line block ×6, first 2 shown]
	s_waitcnt lgkmcnt(0)
	s_barrier
	buffer_gl0_inv
	ds_read_b128 v[28:31], v126
	ds_read_b128 v[32:35], v126 offset:560
	ds_read_b128 v[36:39], v126 offset:1120
	;; [unrolled: 1-line block ×6, first 2 shown]
	v_mad_u64_u32 v[61:62], null, s9, v125, v[59:60]
	v_mov_b32_e32 v57, v60
	v_lshlrev_b64 v[56:57], 4, v[56:57]
	v_mov_b32_e32 v59, v61
	v_lshlrev_b64 v[58:59], 4, v[58:59]
	v_add_co_u32 v56, vcc_lo, s4, v56
	s_waitcnt lgkmcnt(3)
	v_mul_f64 v[66:67], v[14:15], v[42:43]
	v_mul_f64 v[60:61], v[2:3], v[30:31]
	;; [unrolled: 1-line block ×8, first 2 shown]
	s_waitcnt lgkmcnt(2)
	v_mul_f64 v[68:69], v[22:23], v[46:47]
	v_mul_f64 v[22:23], v[22:23], v[44:45]
	s_waitcnt lgkmcnt(1)
	v_mul_f64 v[70:71], v[18:19], v[50:51]
	v_mul_f64 v[18:19], v[18:19], v[48:49]
	;; [unrolled: 3-line block ×3, first 2 shown]
	v_add_co_ci_u32_e32 v57, vcc_lo, s5, v57, vcc_lo
	v_add_co_u32 v56, vcc_lo, v56, v58
	v_add_co_ci_u32_e32 v57, vcc_lo, v57, v59, vcc_lo
	v_fma_f64 v[28:29], v[0:1], v[28:29], v[60:61]
	v_fma_f64 v[2:3], v[0:1], v[30:31], -v[2:3]
	v_fma_f64 v[30:31], v[4:5], v[32:33], v[62:63]
	v_fma_f64 v[6:7], v[4:5], v[34:35], -v[6:7]
	;; [unrolled: 2-line block ×7, first 2 shown]
	v_add_co_u32 v42, vcc_lo, v56, s2
	v_add_co_ci_u32_e32 v43, vcc_lo, s3, v57, vcc_lo
	v_add_co_u32 v44, vcc_lo, v42, s2
	v_add_co_ci_u32_e32 v45, vcc_lo, s3, v43, vcc_lo
	v_mul_f64 v[0:1], v[28:29], s[0:1]
	v_mul_f64 v[2:3], v[2:3], s[0:1]
	;; [unrolled: 1-line block ×12, first 2 shown]
	v_add_co_u32 v28, vcc_lo, v44, s2
	v_mul_f64 v[24:25], v[40:41], s[0:1]
	v_mul_f64 v[26:27], v[26:27], s[0:1]
	v_add_co_ci_u32_e32 v29, vcc_lo, s3, v45, vcc_lo
	v_add_co_u32 v30, vcc_lo, v28, s2
	v_add_co_ci_u32_e32 v31, vcc_lo, s3, v29, vcc_lo
	v_add_co_u32 v32, vcc_lo, v30, s2
	;; [unrolled: 2-line block ×3, first 2 shown]
	v_add_co_ci_u32_e32 v35, vcc_lo, s3, v33, vcc_lo
	global_store_dwordx4 v[56:57], v[0:3], off
	global_store_dwordx4 v[42:43], v[4:7], off
	;; [unrolled: 1-line block ×7, first 2 shown]
.LBB0_10:
	s_endpgm
	.section	.rodata,"a",@progbits
	.p2align	6, 0x0
	.amdhsa_kernel bluestein_single_back_len245_dim1_dp_op_CI_CI
		.amdhsa_group_segment_fixed_size 27440
		.amdhsa_private_segment_fixed_size 0
		.amdhsa_kernarg_size 104
		.amdhsa_user_sgpr_count 6
		.amdhsa_user_sgpr_private_segment_buffer 1
		.amdhsa_user_sgpr_dispatch_ptr 0
		.amdhsa_user_sgpr_queue_ptr 0
		.amdhsa_user_sgpr_kernarg_segment_ptr 1
		.amdhsa_user_sgpr_dispatch_id 0
		.amdhsa_user_sgpr_flat_scratch_init 0
		.amdhsa_user_sgpr_private_segment_size 0
		.amdhsa_wavefront_size32 1
		.amdhsa_uses_dynamic_stack 0
		.amdhsa_system_sgpr_private_segment_wavefront_offset 0
		.amdhsa_system_sgpr_workgroup_id_x 1
		.amdhsa_system_sgpr_workgroup_id_y 0
		.amdhsa_system_sgpr_workgroup_id_z 0
		.amdhsa_system_sgpr_workgroup_info 0
		.amdhsa_system_vgpr_workitem_id 0
		.amdhsa_next_free_vgpr 185
		.amdhsa_next_free_sgpr 30
		.amdhsa_reserve_vcc 1
		.amdhsa_reserve_flat_scratch 0
		.amdhsa_float_round_mode_32 0
		.amdhsa_float_round_mode_16_64 0
		.amdhsa_float_denorm_mode_32 3
		.amdhsa_float_denorm_mode_16_64 3
		.amdhsa_dx10_clamp 1
		.amdhsa_ieee_mode 1
		.amdhsa_fp16_overflow 0
		.amdhsa_workgroup_processor_mode 1
		.amdhsa_memory_ordered 1
		.amdhsa_forward_progress 0
		.amdhsa_shared_vgpr_count 0
		.amdhsa_exception_fp_ieee_invalid_op 0
		.amdhsa_exception_fp_denorm_src 0
		.amdhsa_exception_fp_ieee_div_zero 0
		.amdhsa_exception_fp_ieee_overflow 0
		.amdhsa_exception_fp_ieee_underflow 0
		.amdhsa_exception_fp_ieee_inexact 0
		.amdhsa_exception_int_div_zero 0
	.end_amdhsa_kernel
	.text
.Lfunc_end0:
	.size	bluestein_single_back_len245_dim1_dp_op_CI_CI, .Lfunc_end0-bluestein_single_back_len245_dim1_dp_op_CI_CI
                                        ; -- End function
	.section	.AMDGPU.csdata,"",@progbits
; Kernel info:
; codeLenInByte = 9416
; NumSgprs: 32
; NumVgprs: 185
; ScratchSize: 0
; MemoryBound: 0
; FloatMode: 240
; IeeeMode: 1
; LDSByteSize: 27440 bytes/workgroup (compile time only)
; SGPRBlocks: 3
; VGPRBlocks: 23
; NumSGPRsForWavesPerEU: 32
; NumVGPRsForWavesPerEU: 185
; Occupancy: 5
; WaveLimiterHint : 1
; COMPUTE_PGM_RSRC2:SCRATCH_EN: 0
; COMPUTE_PGM_RSRC2:USER_SGPR: 6
; COMPUTE_PGM_RSRC2:TRAP_HANDLER: 0
; COMPUTE_PGM_RSRC2:TGID_X_EN: 1
; COMPUTE_PGM_RSRC2:TGID_Y_EN: 0
; COMPUTE_PGM_RSRC2:TGID_Z_EN: 0
; COMPUTE_PGM_RSRC2:TIDIG_COMP_CNT: 0
	.text
	.p2alignl 6, 3214868480
	.fill 48, 4, 3214868480
	.type	__hip_cuid_64123c32d15b286f,@object ; @__hip_cuid_64123c32d15b286f
	.section	.bss,"aw",@nobits
	.globl	__hip_cuid_64123c32d15b286f
__hip_cuid_64123c32d15b286f:
	.byte	0                               ; 0x0
	.size	__hip_cuid_64123c32d15b286f, 1

	.ident	"AMD clang version 19.0.0git (https://github.com/RadeonOpenCompute/llvm-project roc-6.4.0 25133 c7fe45cf4b819c5991fe208aaa96edf142730f1d)"
	.section	".note.GNU-stack","",@progbits
	.addrsig
	.addrsig_sym __hip_cuid_64123c32d15b286f
	.amdgpu_metadata
---
amdhsa.kernels:
  - .args:
      - .actual_access:  read_only
        .address_space:  global
        .offset:         0
        .size:           8
        .value_kind:     global_buffer
      - .actual_access:  read_only
        .address_space:  global
        .offset:         8
        .size:           8
        .value_kind:     global_buffer
      - .actual_access:  read_only
        .address_space:  global
        .offset:         16
        .size:           8
        .value_kind:     global_buffer
      - .actual_access:  read_only
        .address_space:  global
        .offset:         24
        .size:           8
        .value_kind:     global_buffer
      - .actual_access:  read_only
        .address_space:  global
        .offset:         32
        .size:           8
        .value_kind:     global_buffer
      - .offset:         40
        .size:           8
        .value_kind:     by_value
      - .address_space:  global
        .offset:         48
        .size:           8
        .value_kind:     global_buffer
      - .address_space:  global
        .offset:         56
        .size:           8
        .value_kind:     global_buffer
      - .address_space:  global
        .offset:         64
        .size:           8
        .value_kind:     global_buffer
      - .address_space:  global
        .offset:         72
        .size:           8
        .value_kind:     global_buffer
      - .offset:         80
        .size:           4
        .value_kind:     by_value
      - .address_space:  global
        .offset:         88
        .size:           8
        .value_kind:     global_buffer
      - .address_space:  global
        .offset:         96
        .size:           8
        .value_kind:     global_buffer
    .group_segment_fixed_size: 27440
    .kernarg_segment_align: 8
    .kernarg_segment_size: 104
    .language:       OpenCL C
    .language_version:
      - 2
      - 0
    .max_flat_workgroup_size: 245
    .name:           bluestein_single_back_len245_dim1_dp_op_CI_CI
    .private_segment_fixed_size: 0
    .sgpr_count:     32
    .sgpr_spill_count: 0
    .symbol:         bluestein_single_back_len245_dim1_dp_op_CI_CI.kd
    .uniform_work_group_size: 1
    .uses_dynamic_stack: false
    .vgpr_count:     185
    .vgpr_spill_count: 0
    .wavefront_size: 32
    .workgroup_processor_mode: 1
amdhsa.target:   amdgcn-amd-amdhsa--gfx1030
amdhsa.version:
  - 1
  - 2
...

	.end_amdgpu_metadata
